;; amdgpu-corpus repo=ROCm/rocFFT kind=compiled arch=gfx950 opt=O3
	.text
	.amdgcn_target "amdgcn-amd-amdhsa--gfx950"
	.amdhsa_code_object_version 6
	.protected	fft_rtc_fwd_len1089_factors_3_11_3_11_wgs_121_tpt_121_sp_ip_CI_sbrr_dirReg ; -- Begin function fft_rtc_fwd_len1089_factors_3_11_3_11_wgs_121_tpt_121_sp_ip_CI_sbrr_dirReg
	.globl	fft_rtc_fwd_len1089_factors_3_11_3_11_wgs_121_tpt_121_sp_ip_CI_sbrr_dirReg
	.p2align	8
	.type	fft_rtc_fwd_len1089_factors_3_11_3_11_wgs_121_tpt_121_sp_ip_CI_sbrr_dirReg,@function
fft_rtc_fwd_len1089_factors_3_11_3_11_wgs_121_tpt_121_sp_ip_CI_sbrr_dirReg: ; @fft_rtc_fwd_len1089_factors_3_11_3_11_wgs_121_tpt_121_sp_ip_CI_sbrr_dirReg
; %bb.0:
	s_load_dwordx2 s[12:13], s[0:1], 0x18
	s_load_dwordx4 s[4:7], s[0:1], 0x0
	s_load_dwordx2 s[10:11], s[0:1], 0x50
	v_mul_u32_u24_e32 v1, 0x21e, v0
	v_add_u32_sdwa v6, s2, v1 dst_sel:DWORD dst_unused:UNUSED_PAD src0_sel:DWORD src1_sel:WORD_1
	s_waitcnt lgkmcnt(0)
	s_load_dwordx2 s[8:9], s[12:13], 0x0
	v_mov_b32_e32 v4, 0
	v_cmp_lt_u64_e64 s[2:3], s[6:7], 2
	v_mov_b32_e32 v7, v4
	s_and_b64 vcc, exec, s[2:3]
	v_mov_b64_e32 v[2:3], 0
	s_cbranch_vccnz .LBB0_8
; %bb.1:
	s_load_dwordx2 s[2:3], s[0:1], 0x10
	s_add_u32 s14, s12, 8
	s_addc_u32 s15, s13, 0
	s_mov_b64 s[16:17], 1
	v_mov_b64_e32 v[2:3], 0
	s_waitcnt lgkmcnt(0)
	s_add_u32 s18, s2, 8
	s_addc_u32 s19, s3, 0
.LBB0_2:                                ; =>This Inner Loop Header: Depth=1
	s_load_dwordx2 s[20:21], s[18:19], 0x0
                                        ; implicit-def: $vgpr8_vgpr9
	s_waitcnt lgkmcnt(0)
	v_or_b32_e32 v5, s21, v7
	v_cmp_ne_u64_e32 vcc, 0, v[4:5]
	s_and_saveexec_b64 s[2:3], vcc
	s_xor_b64 s[22:23], exec, s[2:3]
	s_cbranch_execz .LBB0_4
; %bb.3:                                ;   in Loop: Header=BB0_2 Depth=1
	v_cvt_f32_u32_e32 v1, s20
	v_cvt_f32_u32_e32 v5, s21
	s_sub_u32 s2, 0, s20
	s_subb_u32 s3, 0, s21
	v_fmac_f32_e32 v1, 0x4f800000, v5
	v_rcp_f32_e32 v1, v1
	s_nop 0
	v_mul_f32_e32 v1, 0x5f7ffffc, v1
	v_mul_f32_e32 v5, 0x2f800000, v1
	v_trunc_f32_e32 v5, v5
	v_fmac_f32_e32 v1, 0xcf800000, v5
	v_cvt_u32_f32_e32 v5, v5
	v_cvt_u32_f32_e32 v1, v1
	v_mul_lo_u32 v8, s2, v5
	v_mul_hi_u32 v10, s2, v1
	v_mul_lo_u32 v9, s3, v1
	v_add_u32_e32 v10, v10, v8
	v_mul_lo_u32 v12, s2, v1
	v_add_u32_e32 v13, v10, v9
	v_mul_hi_u32 v8, v1, v12
	v_mul_hi_u32 v11, v1, v13
	v_mul_lo_u32 v10, v1, v13
	v_mov_b32_e32 v9, v4
	v_lshl_add_u64 v[8:9], v[8:9], 0, v[10:11]
	v_mul_hi_u32 v11, v5, v12
	v_mul_lo_u32 v12, v5, v12
	v_add_co_u32_e32 v8, vcc, v8, v12
	v_mul_hi_u32 v10, v5, v13
	s_nop 0
	v_addc_co_u32_e32 v8, vcc, v9, v11, vcc
	v_mov_b32_e32 v9, v4
	s_nop 0
	v_addc_co_u32_e32 v11, vcc, 0, v10, vcc
	v_mul_lo_u32 v10, v5, v13
	v_lshl_add_u64 v[8:9], v[8:9], 0, v[10:11]
	v_add_co_u32_e32 v1, vcc, v1, v8
	v_mul_lo_u32 v10, s2, v1
	s_nop 0
	v_addc_co_u32_e32 v5, vcc, v5, v9, vcc
	v_mul_lo_u32 v8, s2, v5
	v_mul_hi_u32 v9, s2, v1
	v_add_u32_e32 v8, v9, v8
	v_mul_lo_u32 v9, s3, v1
	v_add_u32_e32 v12, v8, v9
	v_mul_hi_u32 v14, v5, v10
	v_mul_lo_u32 v15, v5, v10
	v_mul_hi_u32 v9, v1, v12
	v_mul_lo_u32 v8, v1, v12
	v_mul_hi_u32 v10, v1, v10
	v_mov_b32_e32 v11, v4
	v_lshl_add_u64 v[8:9], v[10:11], 0, v[8:9]
	v_add_co_u32_e32 v8, vcc, v8, v15
	v_mul_hi_u32 v13, v5, v12
	s_nop 0
	v_addc_co_u32_e32 v8, vcc, v9, v14, vcc
	v_mul_lo_u32 v10, v5, v12
	s_nop 0
	v_addc_co_u32_e32 v11, vcc, 0, v13, vcc
	v_mov_b32_e32 v9, v4
	v_lshl_add_u64 v[8:9], v[8:9], 0, v[10:11]
	v_add_co_u32_e32 v1, vcc, v1, v8
	v_mul_hi_u32 v10, v6, v1
	s_nop 0
	v_addc_co_u32_e32 v5, vcc, v5, v9, vcc
	v_mad_u64_u32 v[8:9], s[2:3], v6, v5, 0
	v_mov_b32_e32 v11, v4
	v_lshl_add_u64 v[8:9], v[10:11], 0, v[8:9]
	v_mad_u64_u32 v[12:13], s[2:3], v7, v1, 0
	v_add_co_u32_e32 v1, vcc, v8, v12
	v_mad_u64_u32 v[10:11], s[2:3], v7, v5, 0
	s_nop 0
	v_addc_co_u32_e32 v8, vcc, v9, v13, vcc
	v_mov_b32_e32 v9, v4
	s_nop 0
	v_addc_co_u32_e32 v11, vcc, 0, v11, vcc
	v_lshl_add_u64 v[8:9], v[8:9], 0, v[10:11]
	v_mul_lo_u32 v1, s21, v8
	v_mul_lo_u32 v5, s20, v9
	v_mad_u64_u32 v[10:11], s[2:3], s20, v8, 0
	v_add3_u32 v1, v11, v5, v1
	v_sub_u32_e32 v5, v7, v1
	v_mov_b32_e32 v11, s21
	v_sub_co_u32_e32 v14, vcc, v6, v10
	v_lshl_add_u64 v[12:13], v[8:9], 0, 1
	s_nop 0
	v_subb_co_u32_e64 v5, s[2:3], v5, v11, vcc
	v_subrev_co_u32_e64 v10, s[2:3], s20, v14
	v_subb_co_u32_e32 v1, vcc, v7, v1, vcc
	s_nop 0
	v_subbrev_co_u32_e64 v5, s[2:3], 0, v5, s[2:3]
	v_cmp_le_u32_e64 s[2:3], s21, v5
	v_cmp_le_u32_e32 vcc, s21, v1
	s_nop 0
	v_cndmask_b32_e64 v11, 0, -1, s[2:3]
	v_cmp_le_u32_e64 s[2:3], s20, v10
	s_nop 1
	v_cndmask_b32_e64 v10, 0, -1, s[2:3]
	v_cmp_eq_u32_e64 s[2:3], s21, v5
	s_nop 1
	v_cndmask_b32_e64 v5, v11, v10, s[2:3]
	v_lshl_add_u64 v[10:11], v[8:9], 0, 2
	v_cmp_ne_u32_e64 s[2:3], 0, v5
	s_nop 1
	v_cndmask_b32_e64 v5, v13, v11, s[2:3]
	v_cndmask_b32_e64 v11, 0, -1, vcc
	v_cmp_le_u32_e32 vcc, s20, v14
	s_nop 1
	v_cndmask_b32_e64 v13, 0, -1, vcc
	v_cmp_eq_u32_e32 vcc, s21, v1
	s_nop 1
	v_cndmask_b32_e32 v1, v11, v13, vcc
	v_cmp_ne_u32_e32 vcc, 0, v1
	v_cndmask_b32_e64 v1, v12, v10, s[2:3]
	s_nop 0
	v_cndmask_b32_e32 v9, v9, v5, vcc
	v_cndmask_b32_e32 v8, v8, v1, vcc
.LBB0_4:                                ;   in Loop: Header=BB0_2 Depth=1
	s_andn2_saveexec_b64 s[2:3], s[22:23]
	s_cbranch_execz .LBB0_6
; %bb.5:                                ;   in Loop: Header=BB0_2 Depth=1
	v_cvt_f32_u32_e32 v1, s20
	s_sub_i32 s22, 0, s20
	v_rcp_iflag_f32_e32 v1, v1
	s_nop 0
	v_mul_f32_e32 v1, 0x4f7ffffe, v1
	v_cvt_u32_f32_e32 v1, v1
	v_mul_lo_u32 v5, s22, v1
	v_mul_hi_u32 v5, v1, v5
	v_add_u32_e32 v1, v1, v5
	v_mul_hi_u32 v1, v6, v1
	v_mul_lo_u32 v5, v1, s20
	v_sub_u32_e32 v5, v6, v5
	v_add_u32_e32 v8, 1, v1
	v_subrev_u32_e32 v9, s20, v5
	v_cmp_le_u32_e32 vcc, s20, v5
	s_nop 1
	v_cndmask_b32_e32 v5, v5, v9, vcc
	v_cndmask_b32_e32 v1, v1, v8, vcc
	v_add_u32_e32 v8, 1, v1
	v_cmp_le_u32_e32 vcc, s20, v5
	v_mov_b32_e32 v9, v4
	s_nop 0
	v_cndmask_b32_e32 v8, v1, v8, vcc
.LBB0_6:                                ;   in Loop: Header=BB0_2 Depth=1
	s_or_b64 exec, exec, s[2:3]
	v_mad_u64_u32 v[10:11], s[2:3], v8, s20, 0
	s_load_dwordx2 s[2:3], s[14:15], 0x0
	v_mul_lo_u32 v1, v9, s20
	v_mul_lo_u32 v5, v8, s21
	v_add3_u32 v1, v11, v5, v1
	v_sub_co_u32_e32 v5, vcc, v6, v10
	s_add_u32 s16, s16, 1
	s_nop 0
	v_subb_co_u32_e32 v1, vcc, v7, v1, vcc
	s_addc_u32 s17, s17, 0
	s_waitcnt lgkmcnt(0)
	v_mul_lo_u32 v1, s2, v1
	v_mul_lo_u32 v6, s3, v5
	v_mad_u64_u32 v[2:3], s[2:3], s2, v5, v[2:3]
	s_add_u32 s14, s14, 8
	v_add3_u32 v3, v6, v3, v1
	s_addc_u32 s15, s15, 0
	v_mov_b64_e32 v[6:7], s[6:7]
	s_add_u32 s18, s18, 8
	v_cmp_ge_u64_e32 vcc, s[16:17], v[6:7]
	s_addc_u32 s19, s19, 0
	s_cbranch_vccnz .LBB0_9
; %bb.7:                                ;   in Loop: Header=BB0_2 Depth=1
	v_mov_b64_e32 v[6:7], v[8:9]
	s_branch .LBB0_2
.LBB0_8:
	v_mov_b64_e32 v[8:9], v[6:7]
.LBB0_9:
	s_lshl_b64 s[2:3], s[6:7], 3
	s_add_u32 s2, s12, s2
	s_addc_u32 s3, s13, s3
	s_load_dwordx2 s[6:7], s[2:3], 0x0
	s_load_dwordx2 s[12:13], s[0:1], 0x20
	s_mov_b32 s2, 0x21d9eae
                                        ; implicit-def: $vgpr89
                                        ; implicit-def: $vgpr90
	s_waitcnt lgkmcnt(0)
	v_mul_lo_u32 v1, s6, v9
	v_mul_lo_u32 v4, s7, v8
	v_mad_u64_u32 v[2:3], s[0:1], s6, v8, v[2:3]
	v_add3_u32 v3, v4, v3, v1
	v_mul_hi_u32 v1, v0, s2
	v_mul_u32_u24_e32 v1, 0x79, v1
	v_cmp_gt_u64_e32 vcc, s[12:13], v[8:9]
	v_cmp_le_u64_e64 s[0:1], s[12:13], v[8:9]
	v_sub_u32_e32 v88, v0, v1
	s_and_saveexec_b64 s[2:3], s[0:1]
	s_xor_b64 s[0:1], exec, s[2:3]
; %bb.10:
	v_add_u32_e32 v89, 0x79, v88
	v_add_u32_e32 v90, 0xf2, v88
; %bb.11:
	s_or_saveexec_b64 s[0:1], s[0:1]
	v_lshl_add_u64 v[20:21], v[2:3], 3, s[10:11]
                                        ; implicit-def: $vgpr4
                                        ; implicit-def: $vgpr8
                                        ; implicit-def: $vgpr10
                                        ; implicit-def: $vgpr14
                                        ; implicit-def: $vgpr16
                                        ; implicit-def: $vgpr18
                                        ; implicit-def: $vgpr2
                                        ; implicit-def: $vgpr24
                                        ; implicit-def: $vgpr26
	s_xor_b64 exec, exec, s[0:1]
	s_cbranch_execz .LBB0_13
; %bb.12:
	v_mad_u64_u32 v[0:1], s[2:3], s8, v88, 0
	v_mov_b32_e32 v2, v1
	v_mad_u64_u32 v[2:3], s[2:3], s9, v88, v[2:3]
	v_add_u32_e32 v5, 0x16b, v88
	v_mov_b32_e32 v1, v2
	v_mad_u64_u32 v[2:3], s[2:3], s8, v5, 0
	v_mov_b32_e32 v4, v3
	v_mad_u64_u32 v[4:5], s[2:3], s9, v5, v[4:5]
	v_mov_b32_e32 v3, v4
	v_add_u32_e32 v5, 0x2d6, v88
	v_lshl_add_u64 v[6:7], v[2:3], 3, v[20:21]
	v_mad_u64_u32 v[2:3], s[2:3], s8, v5, 0
	v_mov_b32_e32 v4, v3
	v_mad_u64_u32 v[4:5], s[2:3], s9, v5, v[4:5]
	v_mov_b32_e32 v3, v4
	v_add_u32_e32 v89, 0x79, v88
	v_lshl_add_u64 v[12:13], v[2:3], 3, v[20:21]
	v_mad_u64_u32 v[2:3], s[2:3], s8, v89, 0
	v_mov_b32_e32 v4, v3
	v_mad_u64_u32 v[4:5], s[2:3], s9, v89, v[4:5]
	v_mov_b32_e32 v3, v4
	v_add_u32_e32 v5, 0x1e4, v88
	v_lshl_add_u64 v[14:15], v[2:3], 3, v[20:21]
	v_mad_u64_u32 v[2:3], s[2:3], s8, v5, 0
	v_mov_b32_e32 v4, v3
	v_mad_u64_u32 v[4:5], s[2:3], s9, v5, v[4:5]
	v_mov_b32_e32 v3, v4
	v_add_u32_e32 v5, 0x34f, v88
	v_lshl_add_u64 v[22:23], v[2:3], 3, v[20:21]
	v_mad_u64_u32 v[2:3], s[2:3], s8, v5, 0
	v_mov_b32_e32 v4, v3
	v_mad_u64_u32 v[4:5], s[2:3], s9, v5, v[4:5]
	v_lshl_add_u64 v[0:1], v[0:1], 3, v[20:21]
	v_mov_b32_e32 v3, v4
	v_add_u32_e32 v90, 0xf2, v88
	v_lshl_add_u64 v[28:29], v[2:3], 3, v[20:21]
	global_load_dwordx2 v[4:5], v[0:1], off
	global_load_dwordx2 v[8:9], v[6:7], off
	;; [unrolled: 1-line block ×4, first 2 shown]
	v_mad_u64_u32 v[0:1], s[2:3], s8, v90, 0
	v_mov_b32_e32 v6, v1
	v_mad_u64_u32 v[6:7], s[2:3], s9, v90, v[6:7]
	v_add_u32_e32 v13, 0x25d, v88
	v_mov_b32_e32 v1, v6
	v_mad_u64_u32 v[6:7], s[2:3], s8, v13, 0
	v_mov_b32_e32 v12, v7
	v_mad_u64_u32 v[12:13], s[2:3], s9, v13, v[12:13]
	v_add_u32_e32 v15, 0x3c8, v88
	v_mov_b32_e32 v7, v12
	v_mad_u64_u32 v[12:13], s[2:3], s8, v15, 0
	v_mov_b32_e32 v14, v13
	v_mad_u64_u32 v[14:15], s[2:3], s9, v15, v[14:15]
	v_mov_b32_e32 v13, v14
	v_lshl_add_u64 v[0:1], v[0:1], 3, v[20:21]
	v_lshl_add_u64 v[6:7], v[6:7], 3, v[20:21]
	;; [unrolled: 1-line block ×3, first 2 shown]
	global_load_dwordx2 v[24:25], v[22:23], off
	global_load_dwordx2 v[26:27], v[28:29], off
	;; [unrolled: 1-line block ×5, first 2 shown]
.LBB0_13:
	s_or_b64 exec, exec, s[0:1]
	s_waitcnt vmcnt(0)
	v_pk_add_f32 v[6:7], v[16:17], v[18:19]
	v_pk_add_f32 v[12:13], v[18:19], v[16:17] neg_lo:[0,1] neg_hi:[0,1]
	s_mov_b32 s0, 0x3f5db3d7
	v_pk_fma_f32 v[6:7], v[6:7], 0.5, v[14:15] op_sel_hi:[1,0,1] neg_lo:[1,0,0] neg_hi:[1,0,0]
	v_pk_mul_f32 v[12:13], v[12:13], s[0:1] op_sel_hi:[1,0]
	v_pk_add_f32 v[0:1], v[4:5], v[8:9]
	v_pk_add_f32 v[22:23], v[6:7], v[12:13] op_sel:[0,1] op_sel_hi:[1,0]
	v_pk_add_f32 v[6:7], v[6:7], v[12:13] op_sel:[0,1] op_sel_hi:[1,0] neg_lo:[0,1] neg_hi:[0,1]
	v_pk_add_f32 v[12:13], v[8:9], v[10:11]
	v_pk_add_f32 v[8:9], v[8:9], v[10:11] neg_lo:[0,1] neg_hi:[0,1]
	v_pk_add_f32 v[0:1], v[0:1], v[10:11]
	v_pk_fma_f32 v[4:5], v[12:13], 0.5, v[4:5] op_sel_hi:[1,0,1] neg_lo:[1,0,0] neg_hi:[1,0,0]
	v_pk_mul_f32 v[8:9], v[8:9], s[0:1] op_sel_hi:[1,0]
	v_pk_add_f32 v[10:11], v[24:25], v[26:27]
	v_pk_add_f32 v[30:31], v[2:3], v[24:25]
	v_pk_add_f32 v[12:13], v[4:5], v[8:9] op_sel:[0,1] op_sel_hi:[1,0]
	v_pk_add_f32 v[4:5], v[4:5], v[8:9] op_sel:[0,1] op_sel_hi:[1,0] neg_lo:[0,1] neg_hi:[0,1]
	v_pk_fma_f32 v[2:3], v[10:11], 0.5, v[2:3] op_sel_hi:[1,0,1] neg_lo:[1,0,0] neg_hi:[1,0,0]
	v_pk_add_f32 v[10:11], v[24:25], v[26:27] neg_lo:[0,1] neg_hi:[0,1]
	v_mad_u32_u24 v29, v88, 24, 0
	v_mov_b32_e32 v8, v12
	v_mov_b32_e32 v9, v5
	v_pk_mul_f32 v[24:25], v[10:11], s[0:1] op_sel_hi:[1,0]
	ds_write2_b64 v29, v[0:1], v[8:9] offset1:1
	v_mov_b32_e32 v8, v4
	v_mov_b32_e32 v9, v13
	v_pk_add_f32 v[10:11], v[2:3], v[24:25] op_sel:[0,1] op_sel_hi:[1,0]
	v_pk_add_f32 v[24:25], v[2:3], v[24:25] op_sel:[0,1] op_sel_hi:[1,0] neg_lo:[0,1] neg_hi:[0,1]
	ds_write_b64 v29, v[8:9] offset:16
	v_mad_i32_i24 v28, v89, 24, 0
	v_pk_add_f32 v[8:9], v[30:31], v[26:27]
	v_mov_b32_e32 v2, v10
	v_mov_b32_e32 v3, v25
	ds_write2_b64 v28, v[8:9], v[2:3] offset1:1
	v_mov_b32_e32 v2, v24
	v_mov_b32_e32 v3, v11
	ds_write_b64 v28, v[2:3] offset:16
	v_pk_add_f32 v[2:3], v[18:19], v[14:15]
	v_mad_i32_i24 v91, v90, 24, 0
	v_pk_add_f32 v[26:27], v[16:17], v[2:3]
	v_mov_b32_e32 v2, v22
	v_mov_b32_e32 v3, v7
	s_movk_i32 s0, 0x63
	ds_write2_b64 v91, v[26:27], v[2:3] offset1:1
	v_mov_b32_e32 v2, v6
	v_mov_b32_e32 v3, v23
	v_cmp_gt_u32_e64 s[0:1], s0, v88
	ds_write_b64 v91, v[2:3] offset:16
	s_waitcnt lgkmcnt(0)
	s_barrier
	s_waitcnt lgkmcnt(0)
                                        ; implicit-def: $vgpr28
                                        ; implicit-def: $vgpr2
                                        ; implicit-def: $vgpr18
                                        ; implicit-def: $vgpr16
	s_and_saveexec_b64 s[2:3], s[0:1]
	s_cbranch_execz .LBB0_15
; %bb.14:
	v_lshlrev_b32_e32 v0, 4, v88
	v_sub_u32_e32 v22, v29, v0
	v_add_u32_e32 v4, 0x400, v22
	ds_read2_b64 v[12:15], v4 offset0:70 offset1:169
	v_add_u32_e32 v8, 0x800, v22
	v_add_u32_e32 v4, 0x1000, v22
	;; [unrolled: 1-line block ×3, first 2 shown]
	ds_read2_b64 v[0:3], v22 offset1:99
	ds_read2_b64 v[4:7], v4 offset0:82 offset1:181
	ds_read2_b64 v[8:11], v8 offset0:140 offset1:239
	;; [unrolled: 1-line block ×3, first 2 shown]
	ds_read_b64 v[28:29], v22 offset:7920
	s_waitcnt lgkmcnt(3)
	v_mov_b32_e32 v22, v6
	v_mov_b32_e32 v27, v5
	;; [unrolled: 1-line block ×3, first 2 shown]
	s_waitcnt lgkmcnt(2)
	v_mov_b32_e32 v24, v10
	v_mov_b32_e32 v25, v9
	v_mov_b32_e32 v10, v8
	v_mov_b32_e32 v9, v15
	v_mov_b32_e32 v8, v14
	v_mov_b32_e32 v4, v12
	v_mov_b32_e32 v5, v3
	v_mov_b32_e32 v12, v2
	s_waitcnt lgkmcnt(1)
	v_mov_b32_e32 v6, v16
	v_mov_b32_e32 v23, v17
	s_waitcnt lgkmcnt(0)
	v_mov_b32_e32 v2, v29
	v_mov_b32_e32 v16, v19
.LBB0_15:
	s_or_b64 exec, exec, s[2:3]
	s_movk_i32 s2, 0xab
	v_mul_lo_u16_sdwa v3, v88, s2 dst_sel:DWORD dst_unused:UNUSED_PAD src0_sel:BYTE_0 src1_sel:DWORD
	v_lshrrev_b16_e32 v92, 9, v3
	v_mul_lo_u16_e32 v3, 3, v92
	v_sub_u16_e32 v93, v88, v3
	v_mov_b32_e32 v3, 10
	v_mul_u32_u24_sdwa v3, v93, v3 dst_sel:DWORD dst_unused:UNUSED_PAD src0_sel:BYTE_0 src1_sel:DWORD
	v_lshlrev_b32_e32 v3, 3, v3
	global_load_dwordx4 v[30:33], v3, s[4:5]
	global_load_dwordx4 v[34:37], v3, s[4:5] offset:16
	global_load_dwordx4 v[38:41], v3, s[4:5] offset:32
	;; [unrolled: 1-line block ×4, first 2 shown]
	v_mov_b32_e32 v14, v5
	v_mov_b32_e32 v50, v13
	;; [unrolled: 1-line block ×7, first 2 shown]
	s_mov_b32 s20, 0xbf68dda4
	s_mov_b32 s2, 0x3ed4b147
	;; [unrolled: 1-line block ×13, first 2 shown]
	s_barrier
	s_waitcnt vmcnt(4)
	v_pk_mul_f32 v[62:63], v[14:15], v[30:31] op_sel_hi:[0,1]
	v_pk_fma_f32 v[14:15], v[12:13], v[30:31], v[62:63] op_sel:[0,0,1] op_sel_hi:[1,1,0] neg_lo:[0,0,1] neg_hi:[0,0,1]
	v_pk_fma_f32 v[12:13], v[12:13], v[30:31], v[62:63] op_sel:[0,0,1] op_sel_hi:[0,1,0]
	v_mov_b32_e32 v12, v7
	v_pk_mul_f32 v[30:31], v[50:51], v[32:33] op_sel_hi:[0,1]
	s_waitcnt vmcnt(3)
	v_pk_mul_f32 v[50:51], v[54:55], v[36:37] op_sel_hi:[0,1]
	v_pk_mul_f32 v[52:53], v[52:53], v[34:35] op_sel_hi:[0,1]
	s_waitcnt vmcnt(2)
	v_pk_mul_f32 v[54:55], v[56:57], v[38:39] op_sel_hi:[0,1]
	;; [unrolled: 3-line block ×4, first 2 shown]
	v_pk_mul_f32 v[2:3], v[2:3], v[48:49] op_sel_hi:[0,1]
	v_pk_fma_f32 v[16:17], v[4:5], v[32:33], v[30:31] op_sel:[0,0,1] op_sel_hi:[1,1,0] neg_lo:[0,0,1] neg_hi:[0,0,1]
	v_pk_fma_f32 v[4:5], v[4:5], v[32:33], v[30:31] op_sel:[0,0,1] op_sel_hi:[0,1,0]
	v_pk_fma_f32 v[30:31], v[8:9], v[34:35], v[52:53] op_sel:[0,0,1] op_sel_hi:[1,1,0] neg_lo:[0,0,1] neg_hi:[0,0,1]
	v_pk_fma_f32 v[8:9], v[8:9], v[34:35], v[52:53] op_sel:[0,0,1] op_sel_hi:[0,1,0]
	;; [unrolled: 2-line block ×8, first 2 shown]
	v_mov_b32_e32 v15, v13
	v_mov_b32_e32 v19, v3
	v_pk_fma_f32 v[24:25], v[6:7], v[44:45], v[58:59] op_sel:[0,0,1] op_sel_hi:[1,1,0] neg_lo:[0,0,1] neg_hi:[0,0,1]
	v_pk_fma_f32 v[6:7], v[6:7], v[44:45], v[58:59] op_sel:[0,0,1] op_sel_hi:[0,1,0]
	v_mov_b32_e32 v17, v5
	v_mov_b32_e32 v27, v43
	v_pk_add_f32 v[54:55], v[14:15], v[18:19] neg_lo:[0,1] neg_hi:[0,1]
	v_mov_b32_e32 v31, v9
	v_mov_b32_e32 v33, v11
	;; [unrolled: 1-line block ×3, first 2 shown]
	v_pk_add_f32 v[10:11], v[14:15], v[18:19]
	v_pk_add_f32 v[56:57], v[16:17], v[26:27] neg_lo:[0,1] neg_hi:[0,1]
	v_pk_mul_f32 v[2:3], v[54:55], s[20:21] op_sel:[1,0] op_sel_hi:[0,0]
	v_mov_b32_e32 v39, v23
	v_pk_add_f32 v[8:9], v[16:17], v[26:27]
	v_pk_add_f32 v[58:59], v[30:31], v[24:25] neg_lo:[0,1] neg_hi:[0,1]
	v_pk_mul_f32 v[12:13], v[56:57], s[10:11] op_sel:[1,0] op_sel_hi:[0,0]
	v_pk_fma_f32 v[46:47], v[10:11], s[2:3], v[2:3] op_sel_hi:[1,0,1]
	v_pk_fma_f32 v[48:49], v[10:11], s[2:3], v[2:3] op_sel_hi:[1,0,1] neg_lo:[0,0,1] neg_hi:[0,0,1]
	v_pk_add_f32 v[6:7], v[30:31], v[24:25]
	v_pk_add_f32 v[60:61], v[32:33], v[38:39] neg_lo:[0,1] neg_hi:[0,1]
	v_pk_mul_f32 v[22:23], v[58:59], s[18:19] op_sel:[1,0] op_sel_hi:[0,0]
	v_pk_fma_f32 v[42:43], v[8:9], s[6:7], v[12:13] op_sel_hi:[1,0,1]
	v_pk_fma_f32 v[44:45], v[8:9], s[6:7], v[12:13] op_sel_hi:[1,0,1] neg_lo:[0,0,1] neg_hi:[0,0,1]
	v_mov_b32_e32 v2, v46
	v_mov_b32_e32 v3, v49
	;; [unrolled: 1-line block ×3, first 2 shown]
	v_pk_add_f32 v[4:5], v[32:33], v[38:39]
	v_pk_mul_f32 v[52:53], v[60:61], s[16:17] op_sel:[1,0] op_sel_hi:[0,0]
	v_pk_fma_f32 v[28:29], v[6:7], s[14:15], v[22:23] op_sel_hi:[1,0,1]
	v_pk_fma_f32 v[40:41], v[6:7], s[14:15], v[22:23] op_sel_hi:[1,0,1] neg_lo:[0,0,1] neg_hi:[0,0,1]
	v_mov_b32_e32 v12, v42
	v_mov_b32_e32 v13, v45
	v_pk_add_f32 v[2:3], v[0:1], v[2:3]
	v_mov_b32_e32 v35, v51
	v_pk_fma_f32 v[50:51], v[4:5], s[12:13], v[52:53] op_sel_hi:[1,0,1]
	v_mov_b32_e32 v22, v28
	v_mov_b32_e32 v23, v41
	v_pk_add_f32 v[2:3], v[12:13], v[2:3]
	v_pk_fma_f32 v[52:53], v[4:5], s[12:13], v[52:53] op_sel_hi:[1,0,1] neg_lo:[0,0,1] neg_hi:[0,0,1]
	v_pk_add_f32 v[2:3], v[22:23], v[2:3]
	v_mov_b32_e32 v12, v50
	v_mov_b32_e32 v13, v53
	v_pk_add_f32 v[2:3], v[12:13], v[2:3]
	v_pk_mul_f32 v[12:13], v[54:55], s[26:27] op_sel:[1,0] op_sel_hi:[0,0]
	v_pk_fma_f32 v[62:63], v[10:11], s[24:25], v[12:13] op_sel_hi:[1,0,1]
	v_pk_fma_f32 v[64:65], v[10:11], s[24:25], v[12:13] op_sel_hi:[1,0,1] neg_lo:[0,0,1] neg_hi:[0,0,1]
	v_pk_mul_f32 v[22:23], v[56:57], s[20:21] op_sel:[1,0] op_sel_hi:[0,0]
	v_mov_b32_e32 v12, v62
	v_mov_b32_e32 v13, v65
	v_pk_fma_f32 v[66:67], v[8:9], s[2:3], v[22:23] op_sel_hi:[1,0,1]
	v_pk_fma_f32 v[68:69], v[8:9], s[2:3], v[22:23] op_sel_hi:[1,0,1] neg_lo:[0,0,1] neg_hi:[0,0,1]
	v_pk_add_f32 v[12:13], v[0:1], v[12:13]
	v_mov_b32_e32 v22, v66
	v_mov_b32_e32 v23, v69
	v_pk_add_f32 v[12:13], v[22:23], v[12:13]
	v_pk_mul_f32 v[22:23], v[58:59], s[22:23] op_sel:[1,0] op_sel_hi:[0,0]
	v_pk_fma_f32 v[70:71], v[6:7], s[12:13], v[22:23] op_sel_hi:[1,0,1]
	v_pk_fma_f32 v[72:73], v[6:7], s[12:13], v[22:23] op_sel_hi:[1,0,1] neg_lo:[0,0,1] neg_hi:[0,0,1]
	v_mov_b32_e32 v22, v70
	v_mov_b32_e32 v23, v73
	v_pk_add_f32 v[12:13], v[22:23], v[12:13]
	v_pk_mul_f32 v[22:23], v[60:61], s[10:11] op_sel:[1,0] op_sel_hi:[0,0]
	v_pk_fma_f32 v[78:79], v[4:5], s[6:7], v[22:23] op_sel_hi:[1,0,1]
	v_pk_fma_f32 v[80:81], v[4:5], s[6:7], v[22:23] op_sel_hi:[1,0,1] neg_lo:[0,0,1] neg_hi:[0,0,1]
	v_mov_b32_e32 v22, v78
	v_mov_b32_e32 v23, v81
	v_pk_add_f32 v[86:87], v[34:35], v[36:37] neg_lo:[0,1] neg_hi:[0,1]
	v_pk_add_f32 v[22:23], v[22:23], v[12:13]
	v_pk_add_f32 v[12:13], v[34:35], v[36:37]
	v_pk_mul_f32 v[74:75], v[86:87], s[28:29] op_sel:[1,0] op_sel_hi:[0,0]
	v_pk_fma_f32 v[82:83], v[12:13], s[14:15], v[74:75] op_sel_hi:[1,0,1]
	v_pk_fma_f32 v[84:85], v[12:13], s[14:15], v[74:75] op_sel_hi:[1,0,1] neg_lo:[0,0,1] neg_hi:[0,0,1]
	v_mov_b32_e32 v74, v82
	v_mov_b32_e32 v75, v85
	v_pk_mul_f32 v[76:77], v[86:87], s[30:31] op_sel:[1,0] op_sel_hi:[0,0]
	v_pk_add_f32 v[22:23], v[74:75], v[22:23]
	v_pk_fma_f32 v[74:75], v[12:13], s[24:25], v[76:77] op_sel_hi:[1,0,1]
	v_pk_fma_f32 v[76:77], v[12:13], s[24:25], v[76:77] op_sel_hi:[1,0,1] neg_lo:[0,0,1] neg_hi:[0,0,1]
	v_mov_b32_e32 v94, v74
	v_mov_b32_e32 v95, v77
	v_pk_add_f32 v[2:3], v[94:95], v[2:3]
	s_and_saveexec_b64 s[20:21], s[0:1]
	s_cbranch_execz .LBB0_17
; %bb.16:
	v_pk_add_f32 v[14:15], v[0:1], v[14:15]
	v_mov_b32_e32 v65, v63
	v_pk_add_f32 v[14:15], v[14:15], v[16:17]
	v_mov_b32_e32 v16, 3
	v_pk_add_f32 v[14:15], v[14:15], v[30:31]
	v_lshlrev_b32_sdwa v16, v16, v93 dst_sel:DWORD dst_unused:UNUSED_PAD src0_sel:DWORD src1_sel:BYTE_0
	v_pk_add_f32 v[14:15], v[14:15], v[32:33]
	v_mul_u32_u24_e32 v17, 0x108, v92
	v_pk_add_f32 v[14:15], v[14:15], v[34:35]
	v_add3_u32 v74, 0, v17, v16
	v_pk_add_f32 v[14:15], v[14:15], v[36:37]
	v_pk_add_f32 v[16:17], v[0:1], v[64:65]
	v_mov_b32_e32 v69, v67
	v_pk_add_f32 v[14:15], v[14:15], v[38:39]
	v_pk_add_f32 v[16:17], v[68:69], v[16:17]
	v_mov_b32_e32 v73, v71
	;; [unrolled: 3-line block ×4, first 2 shown]
	v_mov_b32_e32 v94, v55
	v_mov_b32_e32 v95, v54
	v_pk_add_f32 v[14:15], v[14:15], v[18:19]
	v_pk_add_f32 v[16:17], v[84:85], v[16:17]
	v_mov_b32_e32 v54, v57
	v_mov_b32_e32 v55, v56
	ds_write2_b64 v74, v[14:15], v[16:17] offset1:3
	v_pk_mul_f32 v[16:17], v[94:95], s[22:23] op_sel_hi:[1,0]
	v_pk_mul_f32 v[26:27], v[54:55], s[18:19] op_sel_hi:[1,0]
	v_pk_fma_f32 v[18:19], v[10:11], s[12:13], v[16:17] op_sel_hi:[1,0,1] neg_lo:[0,0,1] neg_hi:[0,0,1]
	v_pk_fma_f32 v[16:17], v[10:11], s[12:13], v[16:17] op_sel_hi:[1,0,1]
	v_mov_b32_e32 v41, v29
	v_mov_b32_e32 v24, v18
	v_mov_b32_e32 v25, v17
	v_pk_fma_f32 v[28:29], v[8:9], s[14:15], v[26:27] op_sel_hi:[1,0,1] neg_lo:[0,0,1] neg_hi:[0,0,1]
	v_pk_fma_f32 v[26:27], v[8:9], s[14:15], v[26:27] op_sel_hi:[1,0,1]
	v_mov_b32_e32 v56, v59
	v_mov_b32_e32 v57, v58
	v_pk_add_f32 v[24:25], v[0:1], v[24:25]
	v_mov_b32_e32 v30, v28
	v_mov_b32_e32 v31, v27
	s_mov_b32 s18, 0x3f68dda4
	v_pk_add_f32 v[24:25], v[30:31], v[24:25]
	v_pk_mul_f32 v[30:31], v[56:57], s[18:19] op_sel_hi:[1,0]
	v_mov_b32_e32 v58, v61
	v_pk_fma_f32 v[32:33], v[6:7], s[2:3], v[30:31] op_sel_hi:[1,0,1] neg_lo:[0,0,1] neg_hi:[0,0,1]
	v_pk_fma_f32 v[30:31], v[6:7], s[2:3], v[30:31] op_sel_hi:[1,0,1]
	v_mov_b32_e32 v59, v60
	v_mov_b32_e32 v34, v32
	;; [unrolled: 1-line block ×3, first 2 shown]
	v_pk_add_f32 v[24:25], v[34:35], v[24:25]
	v_pk_mul_f32 v[34:35], v[58:59], s[26:27] op_sel_hi:[1,0]
	v_mov_b32_e32 v49, v47
	v_pk_fma_f32 v[36:37], v[4:5], s[24:25], v[34:35] op_sel_hi:[1,0,1] neg_lo:[0,0,1] neg_hi:[0,0,1]
	v_pk_fma_f32 v[34:35], v[4:5], s[24:25], v[34:35] op_sel_hi:[1,0,1]
	v_mov_b32_e32 v60, v87
	v_mov_b32_e32 v61, v86
	v_pk_add_f32 v[14:15], v[0:1], v[48:49]
	v_mov_b32_e32 v45, v43
	v_mov_b32_e32 v38, v36
	;; [unrolled: 1-line block ×3, first 2 shown]
	v_pk_add_f32 v[14:15], v[44:45], v[14:15]
	v_pk_add_f32 v[24:25], v[38:39], v[24:25]
	v_pk_mul_f32 v[38:39], v[60:61], s[10:11] op_sel_hi:[1,0]
	v_pk_add_f32 v[14:15], v[40:41], v[14:15]
	v_mov_b32_e32 v53, v51
	v_pk_fma_f32 v[40:41], v[12:13], s[6:7], v[38:39] op_sel_hi:[1,0,1] neg_lo:[0,0,1] neg_hi:[0,0,1]
	v_pk_fma_f32 v[38:39], v[12:13], s[6:7], v[38:39] op_sel_hi:[1,0,1]
	v_pk_add_f32 v[14:15], v[52:53], v[14:15]
	v_mov_b32_e32 v77, v75
	v_mov_b32_e32 v42, v40
	v_mov_b32_e32 v43, v39
	v_pk_add_f32 v[14:15], v[76:77], v[14:15]
	v_pk_add_f32 v[24:25], v[42:43], v[24:25]
	ds_write2_b64 v74, v[14:15], v[24:25] offset0:6 offset1:9
	v_pk_mul_f32 v[14:15], v[94:95], s[10:11] op_sel_hi:[1,0]
	v_pk_mul_f32 v[44:45], v[54:55], s[16:17] op_sel_hi:[1,0]
	v_pk_fma_f32 v[24:25], v[10:11], s[6:7], v[14:15] op_sel_hi:[1,0,1] neg_lo:[0,0,1] neg_hi:[0,0,1]
	v_pk_fma_f32 v[14:15], v[10:11], s[6:7], v[14:15] op_sel_hi:[1,0,1]
	v_mov_b32_e32 v42, v24
	v_mov_b32_e32 v43, v15
	v_pk_fma_f32 v[46:47], v[8:9], s[12:13], v[44:45] op_sel_hi:[1,0,1] neg_lo:[0,0,1] neg_hi:[0,0,1]
	v_pk_fma_f32 v[44:45], v[8:9], s[12:13], v[44:45] op_sel_hi:[1,0,1]
	v_pk_add_f32 v[42:43], v[0:1], v[42:43]
	v_mov_b32_e32 v48, v46
	v_mov_b32_e32 v49, v45
	v_pk_add_f32 v[42:43], v[48:49], v[42:43]
	v_pk_mul_f32 v[48:49], v[56:57], s[26:27] op_sel_hi:[1,0]
	v_pk_mul_f32 v[54:55], v[54:55], s[30:31] op_sel_hi:[1,0]
	v_pk_fma_f32 v[50:51], v[6:7], s[24:25], v[48:49] op_sel_hi:[1,0,1] neg_lo:[0,0,1] neg_hi:[0,0,1]
	v_pk_fma_f32 v[48:49], v[6:7], s[24:25], v[48:49] op_sel_hi:[1,0,1]
	v_mov_b32_e32 v52, v50
	v_mov_b32_e32 v53, v49
	v_pk_add_f32 v[42:43], v[52:53], v[42:43]
	v_pk_mul_f32 v[52:53], v[58:59], s[28:29] op_sel_hi:[1,0]
	v_pk_mul_f32 v[56:57], v[56:57], s[10:11] op_sel_hi:[1,0]
	v_pk_fma_f32 v[62:63], v[4:5], s[14:15], v[52:53] op_sel_hi:[1,0,1] neg_lo:[0,0,1] neg_hi:[0,0,1]
	v_pk_fma_f32 v[52:53], v[4:5], s[14:15], v[52:53] op_sel_hi:[1,0,1]
	v_mov_b32_e32 v64, v62
	v_mov_b32_e32 v65, v53
	v_pk_add_f32 v[42:43], v[64:65], v[42:43]
	v_pk_mul_f32 v[64:65], v[60:61], s[18:19] op_sel_hi:[1,0]
	v_mov_b32_e32 v15, v25
	v_pk_fma_f32 v[66:67], v[12:13], s[2:3], v[64:65] op_sel_hi:[1,0,1] neg_lo:[0,0,1] neg_hi:[0,0,1]
	v_pk_fma_f32 v[64:65], v[12:13], s[2:3], v[64:65] op_sel_hi:[1,0,1]
	v_mov_b32_e32 v68, v66
	v_mov_b32_e32 v69, v65
	v_pk_add_f32 v[42:43], v[68:69], v[42:43]
	v_pk_mul_f32 v[68:69], v[94:95], s[28:29] op_sel_hi:[1,0]
	v_mov_b32_e32 v17, v19
	v_pk_fma_f32 v[70:71], v[10:11], s[14:15], v[68:69] op_sel_hi:[1,0,1] neg_lo:[0,0,1] neg_hi:[0,0,1]
	v_pk_fma_f32 v[10:11], v[10:11], s[14:15], v[68:69] op_sel_hi:[1,0,1]
	v_pk_fma_f32 v[68:69], v[8:9], s[24:25], v[54:55] op_sel_hi:[1,0,1] neg_lo:[0,0,1] neg_hi:[0,0,1]
	v_pk_fma_f32 v[8:9], v[8:9], s[24:25], v[54:55] op_sel_hi:[1,0,1]
	v_mov_b32_e32 v54, v70
	v_mov_b32_e32 v55, v11
	v_pk_add_f32 v[54:55], v[0:1], v[54:55]
	v_mov_b32_e32 v72, v68
	v_mov_b32_e32 v73, v9
	v_pk_add_f32 v[54:55], v[72:73], v[54:55]
	v_pk_fma_f32 v[72:73], v[6:7], s[6:7], v[56:57] op_sel_hi:[1,0,1] neg_lo:[0,0,1] neg_hi:[0,0,1]
	v_pk_fma_f32 v[6:7], v[6:7], s[6:7], v[56:57] op_sel_hi:[1,0,1]
	v_mov_b32_e32 v56, v72
	v_mov_b32_e32 v57, v7
	;; [unrolled: 1-line block ×3, first 2 shown]
	v_pk_add_f32 v[54:55], v[56:57], v[54:55]
	v_pk_mul_f32 v[56:57], v[58:59], s[18:19] op_sel_hi:[1,0]
	v_pk_add_f32 v[10:11], v[0:1], v[10:11]
	v_mov_b32_e32 v9, v69
	v_pk_fma_f32 v[58:59], v[4:5], s[2:3], v[56:57] op_sel_hi:[1,0,1] neg_lo:[0,0,1] neg_hi:[0,0,1]
	v_pk_fma_f32 v[4:5], v[4:5], s[2:3], v[56:57] op_sel_hi:[1,0,1]
	v_pk_add_f32 v[8:9], v[8:9], v[10:11]
	v_mov_b32_e32 v7, v73
	v_mov_b32_e32 v57, v5
	v_pk_add_f32 v[6:7], v[6:7], v[8:9]
	v_mov_b32_e32 v5, v59
	v_mov_b32_e32 v56, v58
	v_pk_add_f32 v[4:5], v[4:5], v[6:7]
	v_pk_add_f32 v[6:7], v[0:1], v[14:15]
	v_mov_b32_e32 v45, v47
	v_pk_add_f32 v[0:1], v[0:1], v[16:17]
	v_mov_b32_e32 v27, v29
	v_pk_add_f32 v[54:55], v[56:57], v[54:55]
	v_pk_mul_f32 v[56:57], v[60:61], s[22:23] op_sel_hi:[1,0]
	v_pk_add_f32 v[6:7], v[44:45], v[6:7]
	v_mov_b32_e32 v49, v51
	v_pk_add_f32 v[0:1], v[26:27], v[0:1]
	v_mov_b32_e32 v31, v33
	v_pk_fma_f32 v[60:61], v[12:13], s[12:13], v[56:57] op_sel_hi:[1,0,1] neg_lo:[0,0,1] neg_hi:[0,0,1]
	v_pk_fma_f32 v[12:13], v[12:13], s[12:13], v[56:57] op_sel_hi:[1,0,1]
	v_pk_add_f32 v[6:7], v[48:49], v[6:7]
	v_mov_b32_e32 v53, v63
	v_pk_add_f32 v[0:1], v[30:31], v[0:1]
	v_mov_b32_e32 v35, v37
	v_mov_b32_e32 v56, v60
	v_mov_b32_e32 v57, v13
	v_mov_b32_e32 v13, v61
	v_pk_add_f32 v[6:7], v[52:53], v[6:7]
	v_mov_b32_e32 v65, v67
	v_pk_add_f32 v[0:1], v[34:35], v[0:1]
	v_mov_b32_e32 v39, v41
	v_pk_add_f32 v[54:55], v[56:57], v[54:55]
	v_pk_add_f32 v[4:5], v[12:13], v[4:5]
	;; [unrolled: 1-line block ×4, first 2 shown]
	ds_write2_b64 v74, v[42:43], v[54:55] offset0:12 offset1:15
	ds_write2_b64 v74, v[4:5], v[6:7] offset0:18 offset1:21
	;; [unrolled: 1-line block ×3, first 2 shown]
	ds_write_b64 v74, v[22:23] offset:240
.LBB0_17:
	s_or_b64 exec, exec, s[20:21]
	s_movk_i32 s2, 0xf9
	v_mul_lo_u16_sdwa v0, v88, s2 dst_sel:DWORD dst_unused:UNUSED_PAD src0_sel:BYTE_0 src1_sel:DWORD
	v_mul_lo_u16_sdwa v4, v89, s2 dst_sel:DWORD dst_unused:UNUSED_PAD src0_sel:BYTE_0 src1_sel:DWORD
	s_mov_b32 s2, 0xf83f
	v_lshrrev_b16_e32 v13, 13, v4
	v_mul_u32_u24_sdwa v4, v90, s2 dst_sel:DWORD dst_unused:UNUSED_PAD src0_sel:WORD_0 src1_sel:DWORD
	v_lshrrev_b16_e32 v8, 13, v0
	v_lshrrev_b32_e32 v18, 21, v4
	v_mul_lo_u16_e32 v0, 33, v8
	v_mul_lo_u16_e32 v4, 33, v18
	v_mul_lo_u16_e32 v10, 33, v13
	v_sub_u16_e32 v9, v88, v0
	v_mov_b32_e32 v0, 4
	v_sub_u16_e32 v19, v90, v4
	v_sub_u16_e32 v25, v89, v10
	v_lshlrev_b32_sdwa v1, v0, v9 dst_sel:DWORD dst_unused:UNUSED_PAD src0_sel:DWORD src1_sel:BYTE_0
	v_lshlrev_b32_e32 v4, 4, v19
	v_lshlrev_b32_sdwa v0, v0, v25 dst_sel:DWORD dst_unused:UNUSED_PAD src0_sel:DWORD src1_sel:BYTE_0
	s_waitcnt lgkmcnt(0)
	s_barrier
	global_load_dwordx4 v[4:7], v4, s[4:5] offset:240
	v_lshl_add_u32 v24, v88, 3, 0
	global_load_dwordx4 v[14:17], v1, s[4:5] offset:240
	global_load_dwordx4 v[26:29], v0, s[4:5] offset:240
	v_lshlrev_b32_e32 v0, 4, v90
	v_lshl_add_u32 v44, v89, 3, 0
	v_sub_u32_e32 v42, v91, v0
	v_add_u32_e32 v12, 0x800, v24
	v_add_u32_e32 v10, 0x1000, v24
	;; [unrolled: 1-line block ×3, first 2 shown]
	ds_read_b64 v[0:1], v24
	ds_read2_b64 v[30:33], v12 offset0:107 offset1:228
	ds_read2_b64 v[34:37], v10 offset0:93 offset1:214
	ds_read2_b64 v[38:41], v11 offset0:79 offset1:200
	ds_read_b64 v[42:43], v42
	ds_read_b64 v[44:45], v44
	v_mov_b32_e32 v46, 3
	v_mul_u32_u24_e32 v8, 0x318, v8
	v_mul_u32_u24_e32 v18, 0x318, v18
	v_lshlrev_b32_sdwa v9, v46, v9 dst_sel:DWORD dst_unused:UNUSED_PAD src0_sel:DWORD src1_sel:BYTE_0
	v_lshlrev_b32_e32 v19, 3, v19
	v_mul_u32_u24_e32 v13, 0x318, v13
	v_lshlrev_b32_sdwa v25, v46, v25 dst_sel:DWORD dst_unused:UNUSED_PAD src0_sel:DWORD src1_sel:BYTE_0
	v_add3_u32 v56, 0, v8, v9
	v_add3_u32 v57, 0, v18, v19
	;; [unrolled: 1-line block ×3, first 2 shown]
	s_mov_b32 s2, 0x3f5db3d7
	s_waitcnt lgkmcnt(0)
	s_barrier
	s_waitcnt vmcnt(2)
	v_mov_b32_e32 v8, v7
	v_pk_mul_f32 v[18:19], v[40:41], v[6:7] op_sel:[1,0] op_sel_hi:[0,1]
	s_waitcnt vmcnt(1)
	v_pk_mul_f32 v[46:47], v[14:15], v[30:31] op_sel:[0,1]
	v_pk_mul_f32 v[48:49], v[16:17], v[36:37] op_sel:[0,1]
	v_pk_mul_f32 v[50:51], v[4:5], v[34:35] op_sel:[0,1]
	s_waitcnt vmcnt(0)
	v_pk_mul_f32 v[52:53], v[26:27], v[32:33] op_sel:[0,1]
	v_pk_mul_f32 v[54:55], v[28:29], v[38:39] op_sel:[0,1]
	v_pk_mul_f32 v[8:9], v[40:41], v[8:9] op_sel:[1,0] op_sel_hi:[0,1]
	v_mov_b32_e32 v13, v18
	v_pk_fma_f32 v[18:19], v[14:15], v[30:31], v[46:47] op_sel:[0,0,1] op_sel_hi:[1,1,0] neg_lo:[0,0,1] neg_hi:[0,0,1]
	v_pk_fma_f32 v[14:15], v[14:15], v[30:31], v[46:47] op_sel:[0,0,1] op_sel_hi:[1,0,0]
	v_pk_fma_f32 v[30:31], v[16:17], v[36:37], v[48:49] op_sel:[0,0,1] op_sel_hi:[1,1,0] neg_lo:[0,0,1] neg_hi:[0,0,1]
	v_pk_fma_f32 v[16:17], v[16:17], v[36:37], v[48:49] op_sel:[0,0,1] op_sel_hi:[1,0,0]
	;; [unrolled: 2-line block ×5, first 2 shown]
	v_pk_fma_f32 v[46:47], v[40:41], v[6:7], v[8:9] neg_lo:[0,0,1] neg_hi:[0,0,1]
	v_pk_fma_f32 v[6:7], v[40:41], v[6:7], v[12:13] op_sel:[1,0,0] op_sel_hi:[0,1,1]
	v_mov_b32_e32 v19, v15
	v_mov_b32_e32 v31, v17
	v_mov_b32_e32 v35, v27
	v_mov_b32_e32 v33, v29
	v_mov_b32_e32 v47, v7
	v_pk_add_f32 v[6:7], v[44:45], v[34:35]
	v_pk_add_f32 v[14:15], v[18:19], v[30:31]
	v_pk_add_f32 v[16:17], v[18:19], v[30:31] neg_lo:[0,1] neg_hi:[0,1]
	v_mov_b32_e32 v37, v5
	v_pk_add_f32 v[4:5], v[0:1], v[18:19]
	v_pk_add_f32 v[18:19], v[6:7], v[32:33]
	v_pk_fma_f32 v[0:1], v[14:15], 0.5, v[0:1] op_sel_hi:[1,0,1] neg_lo:[1,0,0] neg_hi:[1,0,0]
	v_pk_mul_f32 v[6:7], v[16:17], s[2:3] op_sel_hi:[1,0]
	v_pk_add_f32 v[4:5], v[4:5], v[30:31]
	v_pk_add_f32 v[16:17], v[0:1], v[6:7] op_sel:[0,1] op_sel_hi:[1,0]
	v_pk_add_f32 v[38:39], v[0:1], v[6:7] op_sel:[0,1] op_sel_hi:[1,0] neg_lo:[0,1] neg_hi:[0,1]
	v_mov_b32_e32 v0, v16
	v_mov_b32_e32 v1, v39
	;; [unrolled: 1-line block ×4, first 2 shown]
	ds_write2_b64 v56, v[4:5], v[0:1] offset1:33
	ds_write_b64 v56, v[6:7] offset:528
	v_pk_add_f32 v[0:1], v[34:35], v[32:33]
	v_pk_add_f32 v[6:7], v[34:35], v[32:33] neg_lo:[0,1] neg_hi:[0,1]
	v_pk_fma_f32 v[0:1], v[0:1], 0.5, v[44:45] op_sel_hi:[1,0,1] neg_lo:[1,0,0] neg_hi:[1,0,0]
	v_pk_mul_f32 v[6:7], v[6:7], s[2:3] op_sel_hi:[1,0]
	v_pk_add_f32 v[8:9], v[42:43], v[36:37]
	v_pk_add_f32 v[14:15], v[0:1], v[6:7] op_sel:[0,1] op_sel_hi:[1,0]
	v_pk_add_f32 v[30:31], v[0:1], v[6:7] op_sel:[0,1] op_sel_hi:[1,0] neg_lo:[0,1] neg_hi:[0,1]
	v_mov_b32_e32 v0, v14
	v_mov_b32_e32 v1, v31
	ds_write2_b64 v25, v[18:19], v[0:1] offset1:33
	v_mov_b32_e32 v0, v30
	v_mov_b32_e32 v1, v15
	ds_write_b64 v25, v[0:1] offset:528
	v_pk_add_f32 v[0:1], v[36:37], v[46:47]
	v_pk_add_f32 v[8:9], v[8:9], v[46:47]
	v_pk_fma_f32 v[6:7], v[0:1], 0.5, v[42:43] op_sel_hi:[1,0,1] neg_lo:[1,0,0] neg_hi:[1,0,0]
	v_pk_add_f32 v[0:1], v[36:37], v[46:47] neg_lo:[0,1] neg_hi:[0,1]
	s_nop 0
	v_pk_mul_f32 v[26:27], v[0:1], s[2:3] op_sel_hi:[1,0]
	s_nop 0
	v_pk_add_f32 v[0:1], v[6:7], v[26:27] op_sel:[0,1] op_sel_hi:[1,0]
	v_pk_add_f32 v[36:37], v[6:7], v[26:27] op_sel:[0,1] op_sel_hi:[1,0] neg_lo:[0,1] neg_hi:[0,1]
	v_mov_b32_e32 v6, v0
	v_mov_b32_e32 v7, v37
	ds_write2_b64 v57, v[8:9], v[6:7] offset1:33
	v_mov_b32_e32 v6, v36
	v_mov_b32_e32 v7, v1
	ds_write_b64 v57, v[6:7] offset:528
	s_waitcnt lgkmcnt(0)
	s_barrier
	s_and_saveexec_b64 s[2:3], s[0:1]
	s_cbranch_execnz .LBB0_20
; %bb.18:
	s_or_b64 exec, exec, s[2:3]
	s_and_b64 s[0:1], vcc, s[0:1]
	s_and_saveexec_b64 s[2:3], s[0:1]
	s_cbranch_execnz .LBB0_21
.LBB0_19:
	s_endpgm
.LBB0_20:
	ds_read2_b64 v[4:7], v24 offset1:99
	v_add_u32_e32 v13, 0x400, v24
	ds_read2_b64 v[0:3], v11 offset0:24 offset1:123
	ds_read2_b64 v[8:11], v10 offset0:82 offset1:181
	;; [unrolled: 1-line block ×4, first 2 shown]
	ds_read_b64 v[22:23], v24 offset:7920
	s_waitcnt lgkmcnt(4)
	v_mov_b32_e32 v36, v0
	s_waitcnt lgkmcnt(3)
	v_mov_b32_e32 v37, v11
	v_mov_b32_e32 v0, v10
	s_waitcnt lgkmcnt(1)
	v_mov_b32_e32 v30, v14
	v_mov_b32_e32 v31, v13
	;; [unrolled: 1-line block ×6, first 2 shown]
	s_or_b64 exec, exec, s[2:3]
	s_and_b64 s[0:1], vcc, s[0:1]
	s_and_saveexec_b64 s[2:3], s[0:1]
	s_cbranch_execz .LBB0_19
.LBB0_21:
	v_mul_u32_u24_e32 v6, 10, v88
	v_lshlrev_b32_e32 v24, 3, v6
	global_load_dwordx4 v[42:45], v24, s[4:5] offset:832
	global_load_dwordx4 v[46:49], v24, s[4:5] offset:784
	;; [unrolled: 1-line block ×5, first 2 shown]
	v_mad_u64_u32 v[6:7], s[0:1], s8, v88, 0
	v_mov_b32_e32 v10, v7
	v_mad_u64_u32 v[10:11], s[0:1], s9, v88, v[10:11]
	v_mov_b32_e32 v7, v10
	v_add_u32_e32 v11, 0x63, v88
	v_lshl_add_u64 v[34:35], v[6:7], 3, v[20:21]
	v_mad_u64_u32 v[6:7], s[0:1], s8, v11, 0
	v_mov_b32_e32 v10, v7
	v_mad_u64_u32 v[10:11], s[0:1], s9, v11, v[10:11]
	v_mov_b32_e32 v7, v10
	v_add_u32_e32 v11, 0xc6, v88
	v_lshl_add_u64 v[62:63], v[6:7], 3, v[20:21]
	;; [unrolled: 6-line block ×5, first 2 shown]
	v_mad_u64_u32 v[6:7], s[0:1], s8, v11, 0
	v_mov_b32_e32 v10, v7
	v_mad_u64_u32 v[10:11], s[0:1], s9, v11, v[10:11]
	v_add_u32_e32 v13, 0x252, v88
	v_mov_b32_e32 v7, v10
	v_mad_u64_u32 v[10:11], s[0:1], s8, v13, 0
	v_mov_b32_e32 v12, v11
	v_mad_u64_u32 v[12:13], s[0:1], s9, v13, v[12:13]
	v_add_u32_e32 v25, 0x2b5, v88
	v_mov_b32_e32 v11, v12
	;; [unrolled: 5-line block ×5, first 2 shown]
	v_mad_u64_u32 v[64:65], s[0:1], s8, v67, 0
	v_mov_b32_e32 v66, v65
	v_mad_u64_u32 v[66:67], s[0:1], s9, v67, v[66:67]
	v_mov_b32_e32 v65, v66
	v_lshl_add_u64 v[6:7], v[6:7], 3, v[20:21]
	v_lshl_add_u64 v[10:11], v[10:11], 3, v[20:21]
	;; [unrolled: 1-line block ×6, first 2 shown]
	s_waitcnt lgkmcnt(0)
	v_mov_b32_e32 v64, v23
	s_waitcnt vmcnt(4)
	v_pk_mul_f32 v[64:65], v[64:65], v[44:45] op_sel_hi:[0,1]
	v_pk_fma_f32 v[66:67], v[22:23], v[44:45], v[64:65] op_sel:[0,0,1] op_sel_hi:[1,1,0] neg_lo:[0,0,1] neg_hi:[0,0,1]
	v_pk_fma_f32 v[22:23], v[22:23], v[44:45], v[64:65] op_sel:[0,0,1] op_sel_hi:[0,1,0]
	v_mov_b32_e32 v22, v39
	v_mov_b32_e32 v67, v23
	s_waitcnt vmcnt(2)
	v_pk_mul_f32 v[22:23], v[22:23], v[50:51] op_sel_hi:[0,1]
	v_pk_fma_f32 v[44:45], v[16:17], v[50:51], v[22:23] op_sel:[0,0,1] op_sel_hi:[1,1,0] neg_lo:[0,0,1] neg_hi:[0,0,1]
	v_pk_fma_f32 v[22:23], v[16:17], v[50:51], v[22:23] op_sel:[0,0,1] op_sel_hi:[0,1,0]
	v_mov_b32_e32 v16, v17
	v_pk_mul_f32 v[16:17], v[16:17], v[52:53] op_sel_hi:[0,1]
	v_mov_b32_e32 v45, v23
	v_pk_fma_f32 v[22:23], v[38:39], v[52:53], v[16:17] op_sel:[0,0,1] op_sel_hi:[0,1,0]
	v_mov_b32_e32 v22, v3
	v_pk_fma_f32 v[50:51], v[38:39], v[52:53], v[16:17] op_sel:[0,0,1] op_sel_hi:[1,1,0] neg_lo:[0,0,1] neg_hi:[0,0,1]
	v_pk_mul_f32 v[38:39], v[22:23], v[42:43] op_sel_hi:[0,1]
	v_pk_fma_f32 v[52:53], v[2:3], v[42:43], v[38:39] op_sel:[0,0,1] op_sel_hi:[1,1,0] neg_lo:[0,0,1] neg_hi:[0,0,1]
	v_pk_fma_f32 v[38:39], v[2:3], v[42:43], v[38:39] op_sel:[0,0,1] op_sel_hi:[0,1,0]
	v_mov_b32_e32 v38, v19
	v_mov_b32_e32 v53, v39
	v_pk_mul_f32 v[38:39], v[38:39], v[46:47] op_sel_hi:[0,1]
	v_pk_fma_f32 v[42:43], v[18:19], v[46:47], v[38:39] op_sel:[0,0,1] op_sel_hi:[1,1,0] neg_lo:[0,0,1] neg_hi:[0,0,1]
	v_pk_fma_f32 v[38:39], v[18:19], v[46:47], v[38:39] op_sel:[0,0,1] op_sel_hi:[0,1,0]
	v_mov_b32_e32 v18, v1
	s_waitcnt vmcnt(1)
	v_pk_mul_f32 v[18:19], v[18:19], v[56:57] op_sel_hi:[0,1]
	v_pk_fma_f32 v[46:47], v[36:37], v[56:57], v[18:19] op_sel:[0,0,1] op_sel_hi:[1,1,0] neg_lo:[0,0,1] neg_hi:[0,0,1]
	v_pk_fma_f32 v[18:19], v[36:37], v[56:57], v[18:19] op_sel:[0,0,1] op_sel_hi:[0,1,0]
	v_mov_b32_e32 v36, v37
	v_pk_mul_f32 v[36:37], v[36:37], v[54:55] op_sel_hi:[0,1]
	v_mov_b32_e32 v43, v39
	v_pk_fma_f32 v[38:39], v[0:1], v[54:55], v[36:37] op_sel:[0,0,1] op_sel_hi:[1,1,0] neg_lo:[0,0,1] neg_hi:[0,0,1]
	v_pk_fma_f32 v[54:55], v[0:1], v[54:55], v[36:37] op_sel:[0,0,1] op_sel_hi:[0,1,0]
	v_mov_b32_e32 v54, v31
	v_mov_b32_e32 v39, v55
	v_pk_mul_f32 v[54:55], v[54:55], v[48:49] op_sel_hi:[0,1]
	v_pk_fma_f32 v[56:57], v[14:15], v[48:49], v[54:55] op_sel:[0,0,1] op_sel_hi:[1,1,0] neg_lo:[0,0,1] neg_hi:[0,0,1]
	v_pk_fma_f32 v[48:49], v[14:15], v[48:49], v[54:55] op_sel:[0,0,1] op_sel_hi:[0,1,0]
	v_mov_b32_e32 v14, v9
	s_waitcnt vmcnt(0)
	v_pk_mul_f32 v[54:55], v[14:15], v[60:61] op_sel_hi:[0,1]
	v_pk_fma_f32 v[64:65], v[8:9], v[60:61], v[54:55] op_sel:[0,0,1] op_sel_hi:[1,1,0] neg_lo:[0,0,1] neg_hi:[0,0,1]
	v_pk_fma_f32 v[8:9], v[8:9], v[60:61], v[54:55] op_sel:[0,0,1] op_sel_hi:[0,1,0]
	v_mov_b32_e32 v8, v15
	v_mov_b32_e32 v65, v9
	v_pk_mul_f32 v[8:9], v[8:9], v[58:59] op_sel_hi:[0,1]
	v_pk_add_f32 v[16:17], v[44:45], v[66:67] neg_lo:[0,1] neg_hi:[0,1]
	v_mov_b32_e32 v51, v23
	v_pk_fma_f32 v[14:15], v[30:31], v[58:59], v[8:9] op_sel:[0,0,1] op_sel_hi:[1,1,0] neg_lo:[0,0,1] neg_hi:[0,0,1]
	v_pk_fma_f32 v[8:9], v[30:31], v[58:59], v[8:9] op_sel:[0,0,1] op_sel_hi:[0,1,0]
	s_mov_b32 s14, 0xbf0a6770
	v_pk_add_f32 v[2:3], v[44:45], v[66:67]
	v_pk_add_f32 v[22:23], v[50:51], v[52:53] neg_lo:[0,1] neg_hi:[0,1]
	v_mov_b32_e32 v15, v9
	s_mov_b32 s4, 0x3f575c64
	v_pk_mul_f32 v[8:9], v[16:17], s[14:15] op_sel:[1,0] op_sel_hi:[0,0]
	s_mov_b32 s18, 0xbf68dda4
	v_mov_b32_e32 v47, v19
	v_pk_add_f32 v[18:19], v[50:51], v[52:53]
	s_mov_b32 s0, 0x3ed4b147
	v_pk_mul_f32 v[30:31], v[22:23], s[18:19] op_sel:[1,0] op_sel_hi:[0,0]
	v_pk_fma_f32 v[58:59], v[2:3], s[4:5], v[8:9] op_sel_hi:[1,0,1]
	v_pk_fma_f32 v[8:9], v[2:3], s[4:5], v[8:9] op_sel_hi:[1,0,1] neg_lo:[0,0,1] neg_hi:[0,0,1]
	v_pk_add_f32 v[36:37], v[42:43], v[46:47] neg_lo:[0,1] neg_hi:[0,1]
	s_mov_b32 s6, 0xbf7d64f0
	v_mov_b32_e32 v60, v58
	v_mov_b32_e32 v61, v9
	v_pk_fma_f32 v[68:69], v[18:19], s[0:1], v[30:31] op_sel_hi:[1,0,1]
	v_pk_fma_f32 v[30:31], v[18:19], s[0:1], v[30:31] op_sel_hi:[1,0,1] neg_lo:[0,0,1] neg_hi:[0,0,1]
	v_pk_add_f32 v[0:1], v[42:43], v[46:47]
	s_mov_b32 s2, 0xbe11bafb
	v_pk_mul_f32 v[54:55], v[36:37], s[6:7] op_sel:[1,0] op_sel_hi:[0,0]
	v_pk_add_f32 v[60:61], v[4:5], v[60:61]
	v_mov_b32_e32 v70, v68
	v_mov_b32_e32 v71, v31
	;; [unrolled: 1-line block ×3, first 2 shown]
	v_pk_add_f32 v[60:61], v[60:61], v[70:71]
	v_pk_fma_f32 v[70:71], v[0:1], s[2:3], v[54:55] op_sel_hi:[1,0,1]
	v_pk_fma_f32 v[54:55], v[0:1], s[2:3], v[54:55] op_sel_hi:[1,0,1] neg_lo:[0,0,1] neg_hi:[0,0,1]
	v_pk_add_f32 v[48:49], v[56:57], v[38:39] neg_lo:[0,1] neg_hi:[0,1]
	v_mov_b32_e32 v72, v70
	v_mov_b32_e32 v73, v55
	v_pk_add_f32 v[44:45], v[4:5], v[44:45]
	v_pk_add_f32 v[60:61], v[60:61], v[72:73]
	;; [unrolled: 1-line block ×3, first 2 shown]
	s_mov_b32 s8, 0xbf27a4f4
	v_pk_mul_f32 v[74:75], v[48:49], s[10:11] op_sel:[1,0] op_sel_hi:[0,0]
	v_pk_add_f32 v[44:45], v[44:45], v[50:51]
	v_pk_fma_f32 v[76:77], v[72:73], s[8:9], v[74:75] op_sel_hi:[1,0,1]
	v_pk_fma_f32 v[74:75], v[72:73], s[8:9], v[74:75] op_sel_hi:[1,0,1] neg_lo:[0,0,1] neg_hi:[0,0,1]
	v_pk_add_f32 v[42:43], v[44:45], v[42:43]
	v_mov_b32_e32 v78, v76
	v_mov_b32_e32 v79, v75
	v_pk_add_f32 v[42:43], v[42:43], v[56:57]
	v_pk_add_f32 v[60:61], v[60:61], v[78:79]
	v_pk_add_f32 v[78:79], v[14:15], v[64:65] neg_lo:[0,1] neg_hi:[0,1]
	v_pk_add_f32 v[80:81], v[14:15], v[64:65]
	v_pk_add_f32 v[14:15], v[42:43], v[14:15]
	v_mov_b32_e32 v9, v59
	s_mov_b32 s16, 0xbe903f40
	v_pk_add_f32 v[14:15], v[14:15], v[64:65]
	v_pk_add_f32 v[8:9], v[4:5], v[8:9]
	v_mov_b32_e32 v31, v69
	s_mov_b32 s12, 0xbf75a155
	v_pk_mul_f32 v[82:83], v[78:79], s[16:17] op_sel:[1,0] op_sel_hi:[0,0]
	v_pk_add_f32 v[14:15], v[38:39], v[14:15]
	v_pk_add_f32 v[8:9], v[8:9], v[30:31]
	v_mov_b32_e32 v55, v71
	v_pk_fma_f32 v[84:85], v[80:81], s[12:13], v[82:83] op_sel_hi:[1,0,1]
	v_pk_fma_f32 v[82:83], v[80:81], s[12:13], v[82:83] op_sel_hi:[1,0,1] neg_lo:[0,0,1] neg_hi:[0,0,1]
	v_pk_add_f32 v[14:15], v[46:47], v[14:15]
	v_pk_add_f32 v[8:9], v[8:9], v[54:55]
	v_mov_b32_e32 v75, v77
	v_mov_b32_e32 v87, v83
	v_pk_add_f32 v[14:15], v[52:53], v[14:15]
	v_pk_add_f32 v[8:9], v[8:9], v[74:75]
	v_mov_b32_e32 v83, v85
	v_pk_add_f32 v[14:15], v[66:67], v[14:15]
	v_pk_add_f32 v[8:9], v[8:9], v[82:83]
	global_store_dwordx2 v[34:35], v[14:15], off
	global_store_dwordx2 v[62:63], v[8:9], off
	v_pk_mul_f32 v[8:9], v[16:17], s[18:19] op_sel:[1,0] op_sel_hi:[0,0]
	v_pk_mul_f32 v[14:15], v[22:23], s[10:11] op_sel:[1,0] op_sel_hi:[0,0]
	v_pk_fma_f32 v[42:43], v[2:3], s[0:1], v[8:9] op_sel_hi:[1,0,1]
	v_pk_fma_f32 v[8:9], v[2:3], s[0:1], v[8:9] op_sel_hi:[1,0,1] neg_lo:[0,0,1] neg_hi:[0,0,1]
	s_mov_b32 s20, 0x3e903f40
	v_mov_b32_e32 v44, v42
	v_mov_b32_e32 v45, v9
	v_pk_fma_f32 v[46:47], v[18:19], s[8:9], v[14:15] op_sel_hi:[1,0,1]
	v_pk_fma_f32 v[14:15], v[18:19], s[8:9], v[14:15] op_sel_hi:[1,0,1] neg_lo:[0,0,1] neg_hi:[0,0,1]
	v_pk_mul_f32 v[30:31], v[36:37], s[20:21] op_sel:[1,0] op_sel_hi:[0,0]
	v_pk_add_f32 v[44:45], v[4:5], v[44:45]
	v_mov_b32_e32 v50, v46
	v_mov_b32_e32 v51, v15
	s_mov_b32 s22, 0x3f7d64f0
	v_pk_add_f32 v[44:45], v[44:45], v[50:51]
	v_pk_fma_f32 v[50:51], v[0:1], s[12:13], v[30:31] op_sel_hi:[1,0,1]
	v_pk_fma_f32 v[30:31], v[0:1], s[12:13], v[30:31] op_sel_hi:[1,0,1] neg_lo:[0,0,1] neg_hi:[0,0,1]
	v_pk_mul_f32 v[34:35], v[48:49], s[22:23] op_sel:[1,0] op_sel_hi:[0,0]
	v_mov_b32_e32 v52, v50
	v_mov_b32_e32 v53, v31
	;; [unrolled: 1-line block ×3, first 2 shown]
	s_mov_b32 s18, 0x3f0a6770
	v_pk_add_f32 v[44:45], v[44:45], v[52:53]
	v_pk_fma_f32 v[52:53], v[72:73], s[2:3], v[34:35] op_sel_hi:[1,0,1]
	v_pk_fma_f32 v[34:35], v[72:73], s[2:3], v[34:35] op_sel_hi:[1,0,1] neg_lo:[0,0,1] neg_hi:[0,0,1]
	v_pk_add_f32 v[8:9], v[4:5], v[8:9]
	v_mov_b32_e32 v15, v47
	v_pk_mul_f32 v[38:39], v[78:79], s[18:19] op_sel:[1,0] op_sel_hi:[0,0]
	v_mov_b32_e32 v54, v52
	v_mov_b32_e32 v55, v35
	v_pk_add_f32 v[8:9], v[8:9], v[14:15]
	v_mov_b32_e32 v31, v51
	v_pk_add_f32 v[44:45], v[44:45], v[54:55]
	v_pk_fma_f32 v[54:55], v[80:81], s[4:5], v[38:39] op_sel_hi:[1,0,1]
	v_pk_fma_f32 v[38:39], v[80:81], s[4:5], v[38:39] op_sel_hi:[1,0,1] neg_lo:[0,0,1] neg_hi:[0,0,1]
	v_pk_add_f32 v[8:9], v[8:9], v[30:31]
	v_mov_b32_e32 v35, v53
	v_mov_b32_e32 v57, v39
	v_pk_add_f32 v[8:9], v[8:9], v[34:35]
	v_mov_b32_e32 v39, v55
	v_pk_add_f32 v[8:9], v[8:9], v[38:39]
	global_store_dwordx2 v[40:41], v[8:9], off
	v_pk_mul_f32 v[8:9], v[16:17], s[6:7] op_sel:[1,0] op_sel_hi:[0,0]
	v_pk_mul_f32 v[14:15], v[22:23], s[20:21] op_sel:[1,0] op_sel_hi:[0,0]
	v_pk_fma_f32 v[40:41], v[2:3], s[2:3], v[8:9] op_sel_hi:[1,0,1]
	v_pk_fma_f32 v[8:9], v[2:3], s[2:3], v[8:9] op_sel_hi:[1,0,1] neg_lo:[0,0,1] neg_hi:[0,0,1]
	s_mov_b32 s20, 0x3f68dda4
	v_mov_b32_e32 v42, v40
	v_mov_b32_e32 v43, v9
	v_pk_fma_f32 v[46:47], v[18:19], s[12:13], v[14:15] op_sel_hi:[1,0,1]
	v_pk_fma_f32 v[14:15], v[18:19], s[12:13], v[14:15] op_sel_hi:[1,0,1] neg_lo:[0,0,1] neg_hi:[0,0,1]
	v_pk_mul_f32 v[30:31], v[36:37], s[20:21] op_sel:[1,0] op_sel_hi:[0,0]
	v_pk_add_f32 v[42:43], v[4:5], v[42:43]
	v_mov_b32_e32 v50, v46
	v_mov_b32_e32 v51, v15
	v_pk_add_f32 v[42:43], v[42:43], v[50:51]
	v_pk_fma_f32 v[50:51], v[0:1], s[0:1], v[30:31] op_sel_hi:[1,0,1]
	v_pk_fma_f32 v[30:31], v[0:1], s[0:1], v[30:31] op_sel_hi:[1,0,1] neg_lo:[0,0,1] neg_hi:[0,0,1]
	v_pk_mul_f32 v[34:35], v[48:49], s[14:15] op_sel:[1,0] op_sel_hi:[0,0]
	v_mov_b32_e32 v52, v50
	v_mov_b32_e32 v53, v31
	;; [unrolled: 1-line block ×3, first 2 shown]
	v_pk_add_f32 v[42:43], v[42:43], v[52:53]
	v_pk_fma_f32 v[52:53], v[72:73], s[4:5], v[34:35] op_sel_hi:[1,0,1]
	v_pk_fma_f32 v[34:35], v[72:73], s[4:5], v[34:35] op_sel_hi:[1,0,1] neg_lo:[0,0,1] neg_hi:[0,0,1]
	v_pk_add_f32 v[8:9], v[4:5], v[8:9]
	v_mov_b32_e32 v15, v47
	v_mov_b32_e32 v56, v54
	v_pk_mul_f32 v[38:39], v[78:79], s[10:11] op_sel:[1,0] op_sel_hi:[0,0]
	v_mov_b32_e32 v54, v52
	v_mov_b32_e32 v55, v35
	v_pk_add_f32 v[8:9], v[8:9], v[14:15]
	v_mov_b32_e32 v31, v51
	v_pk_add_f32 v[42:43], v[42:43], v[54:55]
	v_pk_fma_f32 v[54:55], v[80:81], s[8:9], v[38:39] op_sel_hi:[1,0,1]
	v_pk_fma_f32 v[38:39], v[80:81], s[8:9], v[38:39] op_sel_hi:[1,0,1] neg_lo:[0,0,1] neg_hi:[0,0,1]
	v_pk_add_f32 v[8:9], v[8:9], v[30:31]
	v_mov_b32_e32 v35, v53
	v_pk_add_f32 v[44:45], v[44:45], v[56:57]
	v_mov_b32_e32 v57, v39
	;; [unrolled: 2-line block ×3, first 2 shown]
	v_pk_add_f32 v[8:9], v[8:9], v[38:39]
	global_store_dwordx2 v[32:33], v[8:9], off
	v_pk_mul_f32 v[8:9], v[16:17], s[10:11] op_sel:[1,0] op_sel_hi:[0,0]
	v_pk_mul_f32 v[14:15], v[22:23], s[22:23] op_sel:[1,0] op_sel_hi:[0,0]
	v_pk_fma_f32 v[38:39], v[2:3], s[8:9], v[8:9] op_sel_hi:[1,0,1]
	v_pk_fma_f32 v[8:9], v[2:3], s[8:9], v[8:9] op_sel_hi:[1,0,1] neg_lo:[0,0,1] neg_hi:[0,0,1]
	v_mov_b32_e32 v40, v38
	v_mov_b32_e32 v41, v9
	v_pk_fma_f32 v[46:47], v[18:19], s[2:3], v[14:15] op_sel_hi:[1,0,1]
	v_pk_fma_f32 v[14:15], v[18:19], s[2:3], v[14:15] op_sel_hi:[1,0,1] neg_lo:[0,0,1] neg_hi:[0,0,1]
	v_pk_mul_f32 v[30:31], v[36:37], s[14:15] op_sel:[1,0] op_sel_hi:[0,0]
	v_pk_add_f32 v[40:41], v[4:5], v[40:41]
	v_mov_b32_e32 v50, v46
	v_mov_b32_e32 v51, v15
	v_pk_add_f32 v[40:41], v[40:41], v[50:51]
	v_pk_fma_f32 v[50:51], v[0:1], s[4:5], v[30:31] op_sel_hi:[1,0,1]
	v_pk_fma_f32 v[30:31], v[0:1], s[4:5], v[30:31] op_sel_hi:[1,0,1] neg_lo:[0,0,1] neg_hi:[0,0,1]
	v_pk_mul_f32 v[32:33], v[48:49], s[16:17] op_sel:[1,0] op_sel_hi:[0,0]
	v_mov_b32_e32 v52, v50
	v_mov_b32_e32 v53, v31
	;; [unrolled: 1-line block ×3, first 2 shown]
	v_pk_add_f32 v[40:41], v[40:41], v[52:53]
	v_pk_fma_f32 v[52:53], v[72:73], s[12:13], v[32:33] op_sel_hi:[1,0,1]
	v_pk_fma_f32 v[32:33], v[72:73], s[12:13], v[32:33] op_sel_hi:[1,0,1] neg_lo:[0,0,1] neg_hi:[0,0,1]
	v_pk_add_f32 v[8:9], v[4:5], v[8:9]
	v_mov_b32_e32 v15, v47
	v_mov_b32_e32 v56, v54
	v_pk_mul_f32 v[34:35], v[78:79], s[20:21] op_sel:[1,0] op_sel_hi:[0,0]
	v_mov_b32_e32 v54, v52
	v_mov_b32_e32 v55, v33
	v_pk_add_f32 v[8:9], v[8:9], v[14:15]
	v_mov_b32_e32 v31, v51
	v_pk_add_f32 v[40:41], v[40:41], v[54:55]
	v_pk_fma_f32 v[54:55], v[80:81], s[0:1], v[34:35] op_sel_hi:[1,0,1]
	v_pk_fma_f32 v[34:35], v[80:81], s[0:1], v[34:35] op_sel_hi:[1,0,1] neg_lo:[0,0,1] neg_hi:[0,0,1]
	v_pk_add_f32 v[8:9], v[8:9], v[30:31]
	v_mov_b32_e32 v33, v53
	v_pk_add_f32 v[42:43], v[42:43], v[56:57]
	v_mov_b32_e32 v57, v35
	;; [unrolled: 2-line block ×3, first 2 shown]
	v_pk_add_f32 v[8:9], v[8:9], v[34:35]
	global_store_dwordx2 v[28:29], v[8:9], off
	v_pk_mul_f32 v[8:9], v[16:17], s[16:17] op_sel:[1,0] op_sel_hi:[0,0]
	v_pk_mul_f32 v[14:15], v[22:23], s[18:19] op_sel:[1,0] op_sel_hi:[0,0]
	v_pk_fma_f32 v[30:31], v[2:3], s[12:13], v[8:9] op_sel_hi:[1,0,1]
	v_pk_fma_f32 v[2:3], v[2:3], s[12:13], v[8:9] op_sel_hi:[1,0,1] neg_lo:[0,0,1] neg_hi:[0,0,1]
	v_mov_b32_e32 v8, v30
	v_mov_b32_e32 v9, v3
	v_pk_fma_f32 v[32:33], v[18:19], s[4:5], v[14:15] op_sel_hi:[1,0,1]
	v_pk_fma_f32 v[14:15], v[18:19], s[4:5], v[14:15] op_sel_hi:[1,0,1] neg_lo:[0,0,1] neg_hi:[0,0,1]
	v_pk_mul_f32 v[16:17], v[36:37], s[10:11] op_sel:[1,0] op_sel_hi:[0,0]
	v_pk_add_f32 v[8:9], v[4:5], v[8:9]
	v_mov_b32_e32 v18, v32
	v_mov_b32_e32 v19, v15
	v_pk_add_f32 v[8:9], v[8:9], v[18:19]
	v_pk_fma_f32 v[18:19], v[0:1], s[8:9], v[16:17] op_sel_hi:[1,0,1]
	v_pk_fma_f32 v[0:1], v[0:1], s[8:9], v[16:17] op_sel_hi:[1,0,1] neg_lo:[0,0,1] neg_hi:[0,0,1]
	v_pk_mul_f32 v[22:23], v[48:49], s[20:21] op_sel:[1,0] op_sel_hi:[0,0]
	v_mov_b32_e32 v16, v18
	v_mov_b32_e32 v17, v1
	v_mov_b32_e32 v3, v31
	v_pk_add_f32 v[8:9], v[8:9], v[16:17]
	v_pk_fma_f32 v[16:17], v[72:73], s[0:1], v[22:23] op_sel_hi:[1,0,1]
	v_pk_fma_f32 v[22:23], v[72:73], s[0:1], v[22:23] op_sel_hi:[1,0,1] neg_lo:[0,0,1] neg_hi:[0,0,1]
	v_pk_add_f32 v[2:3], v[4:5], v[2:3]
	v_mov_b32_e32 v15, v33
	v_pk_mul_f32 v[28:29], v[78:79], s[6:7] op_sel:[1,0] op_sel_hi:[0,0]
	v_mov_b32_e32 v34, v16
	v_mov_b32_e32 v35, v23
	v_pk_add_f32 v[2:3], v[2:3], v[14:15]
	v_mov_b32_e32 v1, v19
	v_pk_add_f32 v[8:9], v[8:9], v[34:35]
	v_pk_fma_f32 v[34:35], v[80:81], s[2:3], v[28:29] op_sel_hi:[1,0,1]
	v_pk_fma_f32 v[28:29], v[80:81], s[2:3], v[28:29] op_sel_hi:[1,0,1] neg_lo:[0,0,1] neg_hi:[0,0,1]
	v_pk_add_f32 v[0:1], v[2:3], v[0:1]
	v_mov_b32_e32 v23, v17
	v_mov_b32_e32 v37, v29
	v_pk_add_f32 v[0:1], v[0:1], v[22:23]
	v_mov_b32_e32 v29, v35
	v_mov_b32_e32 v86, v84
	;; [unrolled: 1-line block ×4, first 2 shown]
	v_pk_add_f32 v[0:1], v[0:1], v[28:29]
	v_pk_add_f32 v[60:61], v[60:61], v[86:87]
	;; [unrolled: 1-line block ×4, first 2 shown]
	global_store_dwordx2 v[6:7], v[0:1], off
	global_store_dwordx2 v[10:11], v[8:9], off
	;; [unrolled: 1-line block ×6, first 2 shown]
	s_endpgm
	.section	.rodata,"a",@progbits
	.p2align	6, 0x0
	.amdhsa_kernel fft_rtc_fwd_len1089_factors_3_11_3_11_wgs_121_tpt_121_sp_ip_CI_sbrr_dirReg
		.amdhsa_group_segment_fixed_size 0
		.amdhsa_private_segment_fixed_size 0
		.amdhsa_kernarg_size 88
		.amdhsa_user_sgpr_count 2
		.amdhsa_user_sgpr_dispatch_ptr 0
		.amdhsa_user_sgpr_queue_ptr 0
		.amdhsa_user_sgpr_kernarg_segment_ptr 1
		.amdhsa_user_sgpr_dispatch_id 0
		.amdhsa_user_sgpr_kernarg_preload_length 0
		.amdhsa_user_sgpr_kernarg_preload_offset 0
		.amdhsa_user_sgpr_private_segment_size 0
		.amdhsa_uses_dynamic_stack 0
		.amdhsa_enable_private_segment 0
		.amdhsa_system_sgpr_workgroup_id_x 1
		.amdhsa_system_sgpr_workgroup_id_y 0
		.amdhsa_system_sgpr_workgroup_id_z 0
		.amdhsa_system_sgpr_workgroup_info 0
		.amdhsa_system_vgpr_workitem_id 0
		.amdhsa_next_free_vgpr 96
		.amdhsa_next_free_sgpr 32
		.amdhsa_accum_offset 96
		.amdhsa_reserve_vcc 1
		.amdhsa_float_round_mode_32 0
		.amdhsa_float_round_mode_16_64 0
		.amdhsa_float_denorm_mode_32 3
		.amdhsa_float_denorm_mode_16_64 3
		.amdhsa_dx10_clamp 1
		.amdhsa_ieee_mode 1
		.amdhsa_fp16_overflow 0
		.amdhsa_tg_split 0
		.amdhsa_exception_fp_ieee_invalid_op 0
		.amdhsa_exception_fp_denorm_src 0
		.amdhsa_exception_fp_ieee_div_zero 0
		.amdhsa_exception_fp_ieee_overflow 0
		.amdhsa_exception_fp_ieee_underflow 0
		.amdhsa_exception_fp_ieee_inexact 0
		.amdhsa_exception_int_div_zero 0
	.end_amdhsa_kernel
	.text
.Lfunc_end0:
	.size	fft_rtc_fwd_len1089_factors_3_11_3_11_wgs_121_tpt_121_sp_ip_CI_sbrr_dirReg, .Lfunc_end0-fft_rtc_fwd_len1089_factors_3_11_3_11_wgs_121_tpt_121_sp_ip_CI_sbrr_dirReg
                                        ; -- End function
	.section	.AMDGPU.csdata,"",@progbits
; Kernel info:
; codeLenInByte = 7748
; NumSgprs: 38
; NumVgprs: 96
; NumAgprs: 0
; TotalNumVgprs: 96
; ScratchSize: 0
; MemoryBound: 0
; FloatMode: 240
; IeeeMode: 1
; LDSByteSize: 0 bytes/workgroup (compile time only)
; SGPRBlocks: 4
; VGPRBlocks: 11
; NumSGPRsForWavesPerEU: 38
; NumVGPRsForWavesPerEU: 96
; AccumOffset: 96
; Occupancy: 5
; WaveLimiterHint : 1
; COMPUTE_PGM_RSRC2:SCRATCH_EN: 0
; COMPUTE_PGM_RSRC2:USER_SGPR: 2
; COMPUTE_PGM_RSRC2:TRAP_HANDLER: 0
; COMPUTE_PGM_RSRC2:TGID_X_EN: 1
; COMPUTE_PGM_RSRC2:TGID_Y_EN: 0
; COMPUTE_PGM_RSRC2:TGID_Z_EN: 0
; COMPUTE_PGM_RSRC2:TIDIG_COMP_CNT: 0
; COMPUTE_PGM_RSRC3_GFX90A:ACCUM_OFFSET: 23
; COMPUTE_PGM_RSRC3_GFX90A:TG_SPLIT: 0
	.text
	.p2alignl 6, 3212836864
	.fill 256, 4, 3212836864
	.type	__hip_cuid_624c290f47f3222a,@object ; @__hip_cuid_624c290f47f3222a
	.section	.bss,"aw",@nobits
	.globl	__hip_cuid_624c290f47f3222a
__hip_cuid_624c290f47f3222a:
	.byte	0                               ; 0x0
	.size	__hip_cuid_624c290f47f3222a, 1

	.ident	"AMD clang version 19.0.0git (https://github.com/RadeonOpenCompute/llvm-project roc-6.4.0 25133 c7fe45cf4b819c5991fe208aaa96edf142730f1d)"
	.section	".note.GNU-stack","",@progbits
	.addrsig
	.addrsig_sym __hip_cuid_624c290f47f3222a
	.amdgpu_metadata
---
amdhsa.kernels:
  - .agpr_count:     0
    .args:
      - .actual_access:  read_only
        .address_space:  global
        .offset:         0
        .size:           8
        .value_kind:     global_buffer
      - .offset:         8
        .size:           8
        .value_kind:     by_value
      - .actual_access:  read_only
        .address_space:  global
        .offset:         16
        .size:           8
        .value_kind:     global_buffer
      - .actual_access:  read_only
        .address_space:  global
        .offset:         24
        .size:           8
        .value_kind:     global_buffer
      - .offset:         32
        .size:           8
        .value_kind:     by_value
      - .actual_access:  read_only
        .address_space:  global
        .offset:         40
        .size:           8
        .value_kind:     global_buffer
      - .actual_access:  read_only
        .address_space:  global
        .offset:         48
        .size:           8
        .value_kind:     global_buffer
      - .offset:         56
        .size:           4
        .value_kind:     by_value
      - .actual_access:  read_only
        .address_space:  global
        .offset:         64
        .size:           8
        .value_kind:     global_buffer
      - .actual_access:  read_only
        .address_space:  global
        .offset:         72
        .size:           8
        .value_kind:     global_buffer
      - .address_space:  global
        .offset:         80
        .size:           8
        .value_kind:     global_buffer
    .group_segment_fixed_size: 0
    .kernarg_segment_align: 8
    .kernarg_segment_size: 88
    .language:       OpenCL C
    .language_version:
      - 2
      - 0
    .max_flat_workgroup_size: 121
    .name:           fft_rtc_fwd_len1089_factors_3_11_3_11_wgs_121_tpt_121_sp_ip_CI_sbrr_dirReg
    .private_segment_fixed_size: 0
    .sgpr_count:     38
    .sgpr_spill_count: 0
    .symbol:         fft_rtc_fwd_len1089_factors_3_11_3_11_wgs_121_tpt_121_sp_ip_CI_sbrr_dirReg.kd
    .uniform_work_group_size: 1
    .uses_dynamic_stack: false
    .vgpr_count:     96
    .vgpr_spill_count: 0
    .wavefront_size: 64
amdhsa.target:   amdgcn-amd-amdhsa--gfx950
amdhsa.version:
  - 1
  - 2
...

	.end_amdgpu_metadata
